;; amdgpu-corpus repo=ROCm/rocFFT kind=compiled arch=gfx906 opt=O3
	.text
	.amdgcn_target "amdgcn-amd-amdhsa--gfx906"
	.amdhsa_code_object_version 6
	.protected	fft_rtc_back_len768_factors_16_3_16_wgs_48_tpt_48_halfLds_half_ip_CI_unitstride_sbrr_R2C_dirReg ; -- Begin function fft_rtc_back_len768_factors_16_3_16_wgs_48_tpt_48_halfLds_half_ip_CI_unitstride_sbrr_R2C_dirReg
	.globl	fft_rtc_back_len768_factors_16_3_16_wgs_48_tpt_48_halfLds_half_ip_CI_unitstride_sbrr_R2C_dirReg
	.p2align	8
	.type	fft_rtc_back_len768_factors_16_3_16_wgs_48_tpt_48_halfLds_half_ip_CI_unitstride_sbrr_R2C_dirReg,@function
fft_rtc_back_len768_factors_16_3_16_wgs_48_tpt_48_halfLds_half_ip_CI_unitstride_sbrr_R2C_dirReg: ; @fft_rtc_back_len768_factors_16_3_16_wgs_48_tpt_48_halfLds_half_ip_CI_unitstride_sbrr_R2C_dirReg
; %bb.0:
	s_load_dwordx2 s[2:3], s[4:5], 0x50
	s_load_dwordx4 s[8:11], s[4:5], 0x0
	s_load_dwordx2 s[12:13], s[4:5], 0x18
	v_mul_u32_u24_e32 v1, 0x556, v0
	v_add_u32_sdwa v5, s6, v1 dst_sel:DWORD dst_unused:UNUSED_PAD src0_sel:DWORD src1_sel:WORD_1
	v_mov_b32_e32 v3, 0
	s_waitcnt lgkmcnt(0)
	v_cmp_lt_u64_e64 s[0:1], s[10:11], 2
	v_mov_b32_e32 v1, 0
	v_mov_b32_e32 v6, v3
	s_and_b64 vcc, exec, s[0:1]
	v_mov_b32_e32 v2, 0
	s_cbranch_vccnz .LBB0_8
; %bb.1:
	s_load_dwordx2 s[0:1], s[4:5], 0x10
	s_add_u32 s6, s12, 8
	s_addc_u32 s7, s13, 0
	v_mov_b32_e32 v1, 0
	v_mov_b32_e32 v2, 0
	s_waitcnt lgkmcnt(0)
	s_add_u32 s14, s0, 8
	s_addc_u32 s15, s1, 0
	s_mov_b64 s[16:17], 1
.LBB0_2:                                ; =>This Inner Loop Header: Depth=1
	s_load_dwordx2 s[18:19], s[14:15], 0x0
                                        ; implicit-def: $vgpr7_vgpr8
	s_waitcnt lgkmcnt(0)
	v_or_b32_e32 v4, s19, v6
	v_cmp_ne_u64_e32 vcc, 0, v[3:4]
	s_and_saveexec_b64 s[0:1], vcc
	s_xor_b64 s[20:21], exec, s[0:1]
	s_cbranch_execz .LBB0_4
; %bb.3:                                ;   in Loop: Header=BB0_2 Depth=1
	v_cvt_f32_u32_e32 v4, s18
	v_cvt_f32_u32_e32 v7, s19
	s_sub_u32 s0, 0, s18
	s_subb_u32 s1, 0, s19
	v_mac_f32_e32 v4, 0x4f800000, v7
	v_rcp_f32_e32 v4, v4
	v_mul_f32_e32 v4, 0x5f7ffffc, v4
	v_mul_f32_e32 v7, 0x2f800000, v4
	v_trunc_f32_e32 v7, v7
	v_mac_f32_e32 v4, 0xcf800000, v7
	v_cvt_u32_f32_e32 v7, v7
	v_cvt_u32_f32_e32 v4, v4
	v_mul_lo_u32 v8, s0, v7
	v_mul_hi_u32 v9, s0, v4
	v_mul_lo_u32 v11, s1, v4
	v_mul_lo_u32 v10, s0, v4
	v_add_u32_e32 v8, v9, v8
	v_add_u32_e32 v8, v8, v11
	v_mul_hi_u32 v9, v4, v10
	v_mul_lo_u32 v11, v4, v8
	v_mul_hi_u32 v13, v4, v8
	v_mul_hi_u32 v12, v7, v10
	v_mul_lo_u32 v10, v7, v10
	v_mul_hi_u32 v14, v7, v8
	v_add_co_u32_e32 v9, vcc, v9, v11
	v_addc_co_u32_e32 v11, vcc, 0, v13, vcc
	v_mul_lo_u32 v8, v7, v8
	v_add_co_u32_e32 v9, vcc, v9, v10
	v_addc_co_u32_e32 v9, vcc, v11, v12, vcc
	v_addc_co_u32_e32 v10, vcc, 0, v14, vcc
	v_add_co_u32_e32 v8, vcc, v9, v8
	v_addc_co_u32_e32 v9, vcc, 0, v10, vcc
	v_add_co_u32_e32 v4, vcc, v4, v8
	v_addc_co_u32_e32 v7, vcc, v7, v9, vcc
	v_mul_lo_u32 v8, s0, v7
	v_mul_hi_u32 v9, s0, v4
	v_mul_lo_u32 v10, s1, v4
	v_mul_lo_u32 v11, s0, v4
	v_add_u32_e32 v8, v9, v8
	v_add_u32_e32 v8, v8, v10
	v_mul_lo_u32 v12, v4, v8
	v_mul_hi_u32 v13, v4, v11
	v_mul_hi_u32 v14, v4, v8
	;; [unrolled: 1-line block ×3, first 2 shown]
	v_mul_lo_u32 v11, v7, v11
	v_mul_hi_u32 v9, v7, v8
	v_add_co_u32_e32 v12, vcc, v13, v12
	v_addc_co_u32_e32 v13, vcc, 0, v14, vcc
	v_mul_lo_u32 v8, v7, v8
	v_add_co_u32_e32 v11, vcc, v12, v11
	v_addc_co_u32_e32 v10, vcc, v13, v10, vcc
	v_addc_co_u32_e32 v9, vcc, 0, v9, vcc
	v_add_co_u32_e32 v8, vcc, v10, v8
	v_addc_co_u32_e32 v9, vcc, 0, v9, vcc
	v_add_co_u32_e32 v4, vcc, v4, v8
	v_addc_co_u32_e32 v9, vcc, v7, v9, vcc
	v_mad_u64_u32 v[7:8], s[0:1], v5, v9, 0
	v_mul_hi_u32 v10, v5, v4
	v_add_co_u32_e32 v11, vcc, v10, v7
	v_addc_co_u32_e32 v12, vcc, 0, v8, vcc
	v_mad_u64_u32 v[7:8], s[0:1], v6, v4, 0
	v_mad_u64_u32 v[9:10], s[0:1], v6, v9, 0
	v_add_co_u32_e32 v4, vcc, v11, v7
	v_addc_co_u32_e32 v4, vcc, v12, v8, vcc
	v_addc_co_u32_e32 v7, vcc, 0, v10, vcc
	v_add_co_u32_e32 v4, vcc, v4, v9
	v_addc_co_u32_e32 v9, vcc, 0, v7, vcc
	v_mul_lo_u32 v10, s19, v4
	v_mul_lo_u32 v11, s18, v9
	v_mad_u64_u32 v[7:8], s[0:1], s18, v4, 0
	v_add3_u32 v8, v8, v11, v10
	v_sub_u32_e32 v10, v6, v8
	v_mov_b32_e32 v11, s19
	v_sub_co_u32_e32 v7, vcc, v5, v7
	v_subb_co_u32_e64 v10, s[0:1], v10, v11, vcc
	v_subrev_co_u32_e64 v11, s[0:1], s18, v7
	v_subbrev_co_u32_e64 v10, s[0:1], 0, v10, s[0:1]
	v_cmp_le_u32_e64 s[0:1], s19, v10
	v_cndmask_b32_e64 v12, 0, -1, s[0:1]
	v_cmp_le_u32_e64 s[0:1], s18, v11
	v_cndmask_b32_e64 v11, 0, -1, s[0:1]
	v_cmp_eq_u32_e64 s[0:1], s19, v10
	v_cndmask_b32_e64 v10, v12, v11, s[0:1]
	v_add_co_u32_e64 v11, s[0:1], 2, v4
	v_addc_co_u32_e64 v12, s[0:1], 0, v9, s[0:1]
	v_add_co_u32_e64 v13, s[0:1], 1, v4
	v_addc_co_u32_e64 v14, s[0:1], 0, v9, s[0:1]
	v_subb_co_u32_e32 v8, vcc, v6, v8, vcc
	v_cmp_ne_u32_e64 s[0:1], 0, v10
	v_cmp_le_u32_e32 vcc, s19, v8
	v_cndmask_b32_e64 v10, v14, v12, s[0:1]
	v_cndmask_b32_e64 v12, 0, -1, vcc
	v_cmp_le_u32_e32 vcc, s18, v7
	v_cndmask_b32_e64 v7, 0, -1, vcc
	v_cmp_eq_u32_e32 vcc, s19, v8
	v_cndmask_b32_e32 v7, v12, v7, vcc
	v_cmp_ne_u32_e32 vcc, 0, v7
	v_cndmask_b32_e64 v7, v13, v11, s[0:1]
	v_cndmask_b32_e32 v8, v9, v10, vcc
	v_cndmask_b32_e32 v7, v4, v7, vcc
.LBB0_4:                                ;   in Loop: Header=BB0_2 Depth=1
	s_andn2_saveexec_b64 s[0:1], s[20:21]
	s_cbranch_execz .LBB0_6
; %bb.5:                                ;   in Loop: Header=BB0_2 Depth=1
	v_cvt_f32_u32_e32 v4, s18
	s_sub_i32 s20, 0, s18
	v_rcp_iflag_f32_e32 v4, v4
	v_mul_f32_e32 v4, 0x4f7ffffe, v4
	v_cvt_u32_f32_e32 v4, v4
	v_mul_lo_u32 v7, s20, v4
	v_mul_hi_u32 v7, v4, v7
	v_add_u32_e32 v4, v4, v7
	v_mul_hi_u32 v4, v5, v4
	v_mul_lo_u32 v7, v4, s18
	v_add_u32_e32 v8, 1, v4
	v_sub_u32_e32 v7, v5, v7
	v_subrev_u32_e32 v9, s18, v7
	v_cmp_le_u32_e32 vcc, s18, v7
	v_cndmask_b32_e32 v7, v7, v9, vcc
	v_cndmask_b32_e32 v4, v4, v8, vcc
	v_add_u32_e32 v8, 1, v4
	v_cmp_le_u32_e32 vcc, s18, v7
	v_cndmask_b32_e32 v7, v4, v8, vcc
	v_mov_b32_e32 v8, v3
.LBB0_6:                                ;   in Loop: Header=BB0_2 Depth=1
	s_or_b64 exec, exec, s[0:1]
	v_mul_lo_u32 v4, v8, s18
	v_mul_lo_u32 v11, v7, s19
	v_mad_u64_u32 v[9:10], s[0:1], v7, s18, 0
	s_load_dwordx2 s[0:1], s[6:7], 0x0
	s_add_u32 s16, s16, 1
	v_add3_u32 v4, v10, v11, v4
	v_sub_co_u32_e32 v5, vcc, v5, v9
	v_subb_co_u32_e32 v4, vcc, v6, v4, vcc
	s_waitcnt lgkmcnt(0)
	v_mul_lo_u32 v4, s0, v4
	v_mul_lo_u32 v6, s1, v5
	v_mad_u64_u32 v[1:2], s[0:1], s0, v5, v[1:2]
	s_addc_u32 s17, s17, 0
	s_add_u32 s6, s6, 8
	v_add3_u32 v2, v6, v2, v4
	v_mov_b32_e32 v4, s10
	v_mov_b32_e32 v5, s11
	s_addc_u32 s7, s7, 0
	v_cmp_ge_u64_e32 vcc, s[16:17], v[4:5]
	s_add_u32 s14, s14, 8
	s_addc_u32 s15, s15, 0
	s_cbranch_vccnz .LBB0_9
; %bb.7:                                ;   in Loop: Header=BB0_2 Depth=1
	v_mov_b32_e32 v5, v7
	v_mov_b32_e32 v6, v8
	s_branch .LBB0_2
.LBB0_8:
	v_mov_b32_e32 v8, v6
	v_mov_b32_e32 v7, v5
.LBB0_9:
	s_lshl_b64 s[0:1], s[10:11], 3
	s_add_u32 s0, s12, s0
	s_addc_u32 s1, s13, s1
	s_load_dwordx2 s[6:7], s[0:1], 0x0
	s_load_dwordx2 s[10:11], s[4:5], 0x20
                                        ; implicit-def: $vgpr10
                                        ; implicit-def: $vgpr9
                                        ; implicit-def: $vgpr6
	s_waitcnt lgkmcnt(0)
	v_mad_u64_u32 v[1:2], s[0:1], s6, v7, v[1:2]
	s_mov_b32 s0, 0x5555556
	v_mul_lo_u32 v3, s6, v8
	v_mul_lo_u32 v4, s7, v7
	v_mul_hi_u32 v5, v0, s0
	v_cmp_gt_u64_e32 vcc, s[10:11], v[7:8]
	v_cmp_le_u64_e64 s[0:1], s[10:11], v[7:8]
	v_add3_u32 v2, v4, v2, v3
	v_mul_u32_u24_e32 v3, 48, v5
	v_sub_u32_e32 v0, v0, v3
	v_add_u32_e32 v4, 48, v0
                                        ; implicit-def: $vgpr8
	s_and_saveexec_b64 s[4:5], s[0:1]
	s_xor_b64 s[0:1], exec, s[4:5]
; %bb.10:
	v_add_u32_e32 v4, 48, v0
	v_add_u32_e32 v10, 0x60, v0
	;; [unrolled: 1-line block ×3, first 2 shown]
	v_or_b32_e32 v6, 0xc0, v0
	v_add_u32_e32 v8, 0xf0, v0
; %bb.11:
	s_or_saveexec_b64 s[4:5], s[0:1]
	v_lshlrev_b64 v[2:3], 2, v[1:2]
	v_lshl_add_u32 v23, v0, 2, 0
	s_xor_b64 exec, exec, s[4:5]
	s_cbranch_execz .LBB0_13
; %bb.12:
	v_mov_b32_e32 v1, 0
	v_mov_b32_e32 v5, s3
	v_add_co_u32_e64 v7, s[0:1], s2, v2
	v_addc_co_u32_e64 v8, s[0:1], v5, v3, s[0:1]
	v_lshlrev_b64 v[5:6], 2, v[0:1]
	v_add_u32_e32 v10, 0x60, v0
	v_add_co_u32_e64 v5, s[0:1], v7, v5
	v_addc_co_u32_e64 v6, s[0:1], v8, v6, s[0:1]
	global_load_dword v1, v[5:6], off offset:1344
	global_load_dword v7, v[5:6], off
	global_load_dword v11, v[5:6], off offset:192
	global_load_dword v12, v[5:6], off offset:384
	;; [unrolled: 1-line block ×13, first 2 shown]
	s_nop 0
	global_load_dword v5, v[5:6], off offset:2880
	v_add_u32_e32 v9, 0x90, v0
	v_or_b32_e32 v6, 0xc0, v0
	v_add_u32_e32 v8, 0xf0, v0
	v_add_u32_e32 v25, 0x400, v23
	;; [unrolled: 1-line block ×4, first 2 shown]
	s_waitcnt vmcnt(13)
	ds_write2_b32 v23, v7, v11 offset1:48
	s_waitcnt vmcnt(11)
	ds_write2_b32 v23, v12, v13 offset0:96 offset1:144
	s_waitcnt vmcnt(9)
	ds_write2_b32 v25, v15, v1 offset0:32 offset1:80
	;; [unrolled: 2-line block ×4, first 2 shown]
	ds_write2_b32 v23, v14, v16 offset0:192 offset1:240
	s_waitcnt vmcnt(2)
	ds_write2_b32 v27, v21, v22 offset0:64 offset1:112
	s_waitcnt vmcnt(0)
	ds_write2_b32 v27, v24, v5 offset0:160 offset1:208
.LBB0_13:
	s_or_b64 exec, exec, s[4:5]
	s_waitcnt lgkmcnt(0)
	; wave barrier
	s_waitcnt lgkmcnt(0)
	ds_read2_b32 v[11:12], v23 offset1:48
	v_add_u32_e32 v7, 0x400, v23
	v_add_u32_e32 v19, 0x800, v23
	ds_read2_b32 v[13:14], v7 offset0:128 offset1:176
	ds_read2_b32 v[15:16], v23 offset0:192 offset1:240
	;; [unrolled: 1-line block ×3, first 2 shown]
	s_mov_b32 s0, 0xb9a8
	s_movk_i32 s1, 0x39a8
	s_waitcnt lgkmcnt(2)
	v_pk_add_f16 v1, v11, v13 neg_lo:[0,1] neg_hi:[0,1]
	v_pk_add_f16 v5, v12, v14 neg_lo:[0,1] neg_hi:[0,1]
	v_pk_fma_f16 v20, v11, 2.0, v1 op_sel_hi:[1,0,1] neg_lo:[0,0,1] neg_hi:[0,0,1]
	s_waitcnt lgkmcnt(0)
	v_pk_add_f16 v22, v15, v17 neg_lo:[0,1] neg_hi:[0,1]
	v_pk_add_f16 v24, v16, v18 neg_lo:[0,1] neg_hi:[0,1]
	v_add_u32_e32 v11, 0x600, v23
	v_pk_fma_f16 v21, v12, 2.0, v5 op_sel_hi:[1,0,1] neg_lo:[0,0,1] neg_hi:[0,0,1]
	ds_read2_b32 v[11:12], v11 offset0:96 offset1:144
	ds_read2_b32 v[13:14], v23 offset0:96 offset1:144
	v_pk_fma_f16 v25, v15, 2.0, v22 op_sel_hi:[1,0,1] neg_lo:[0,0,1] neg_hi:[0,0,1]
	v_pk_fma_f16 v26, v16, 2.0, v24 op_sel_hi:[1,0,1] neg_lo:[0,0,1] neg_hi:[0,0,1]
	ds_read2_b32 v[15:16], v7 offset0:32 offset1:80
	ds_read2_b32 v[17:18], v19 offset0:160 offset1:208
	v_add_f16_sdwa v27, v1, v22 dst_sel:DWORD dst_unused:UNUSED_PAD src0_sel:DWORD src1_sel:WORD_1
	s_waitcnt lgkmcnt(2)
	v_pk_add_f16 v11, v13, v11 neg_lo:[0,1] neg_hi:[0,1]
	v_lshrrev_b32_e32 v28, 16, v1
	v_lshrrev_b32_e32 v30, 16, v11
	s_waitcnt lgkmcnt(0)
	v_pk_add_f16 v17, v15, v17 neg_lo:[0,1] neg_hi:[0,1]
	v_add_f16_sdwa v29, v11, v17 dst_sel:DWORD dst_unused:UNUSED_PAD src0_sel:DWORD src1_sel:WORD_1
	v_pk_fma_f16 v13, v13, 2.0, v11 op_sel_hi:[1,0,1] neg_lo:[0,0,1] neg_hi:[0,0,1]
	v_pk_fma_f16 v15, v15, 2.0, v17 op_sel_hi:[1,0,1] neg_lo:[0,0,1] neg_hi:[0,0,1]
	v_sub_f16_e32 v22, v28, v22
	v_fma_f16 v1, v1, 2.0, -v27
	v_sub_f16_e32 v17, v30, v17
	v_fma_f16 v11, v11, 2.0, -v29
	v_fma_f16 v28, v28, 2.0, -v22
	;; [unrolled: 1-line block ×3, first 2 shown]
	v_fma_f16 v31, v11, s0, v1
	v_pk_add_f16 v12, v14, v12 neg_lo:[0,1] neg_hi:[0,1]
	v_pk_add_f16 v18, v16, v18 neg_lo:[0,1] neg_hi:[0,1]
	v_fma_f16 v31, v30, s1, v31
	v_fma_f16 v30, v30, s0, v28
	;; [unrolled: 1-line block ×3, first 2 shown]
	v_add_f16_sdwa v32, v5, v24 dst_sel:DWORD dst_unused:UNUSED_PAD src0_sel:DWORD src1_sel:WORD_1
	v_lshrrev_b32_e32 v11, 16, v5
	v_add_f16_sdwa v33, v12, v18 dst_sel:DWORD dst_unused:UNUSED_PAD src0_sel:DWORD src1_sel:WORD_1
	v_lshrrev_b32_e32 v34, 16, v12
	v_pk_fma_f16 v14, v14, 2.0, v12 op_sel_hi:[1,0,1] neg_lo:[0,0,1] neg_hi:[0,0,1]
	v_pk_fma_f16 v16, v16, 2.0, v18 op_sel_hi:[1,0,1] neg_lo:[0,0,1] neg_hi:[0,0,1]
	v_sub_f16_e32 v24, v11, v24
	v_fma_f16 v5, v5, 2.0, -v32
	v_sub_f16_e32 v18, v34, v18
	v_fma_f16 v12, v12, 2.0, -v33
	v_fma_f16 v11, v11, 2.0, -v24
	;; [unrolled: 1-line block ×3, first 2 shown]
	v_fma_f16 v35, v12, s0, v5
	v_fma_f16 v35, v34, s1, v35
	;; [unrolled: 1-line block ×4, first 2 shown]
	v_fma_f16 v1, v1, 2.0, -v31
	v_fma_f16 v5, v5, 2.0, -v35
	s_mov_b32 s4, 0xbb64
	v_fma_f16 v28, v28, 2.0, -v30
	v_fma_f16 v11, v11, 2.0, -v12
	s_movk_i32 s5, 0x361f
	v_fma_f16 v34, v5, s4, v1
	v_fma_f16 v34, v11, s5, v34
	;; [unrolled: 1-line block ×3, first 2 shown]
	s_mov_b32 s6, 0xb61f
	v_fma_f16 v36, v5, s6, v11
	v_fma_f16 v1, v1, 2.0, -v34
	v_fma_f16 v5, v28, 2.0, -v36
	v_pack_b32_f16 v1, v1, v5
	v_pk_add_f16 v5, v20, v25 neg_lo:[0,1] neg_hi:[0,1]
	v_pk_fma_f16 v11, v20, 2.0, v5 op_sel_hi:[1,0,1] neg_lo:[0,0,1] neg_hi:[0,0,1]
	v_pk_add_f16 v15, v13, v15 neg_lo:[0,1] neg_hi:[0,1]
	v_pk_add_f16 v20, v21, v26 neg_lo:[0,1] neg_hi:[0,1]
	;; [unrolled: 1-line block ×3, first 2 shown]
	v_pk_fma_f16 v13, v13, 2.0, v15 op_sel_hi:[1,0,1] neg_lo:[0,0,1] neg_hi:[0,0,1]
	v_pk_fma_f16 v21, v21, 2.0, v20 op_sel_hi:[1,0,1] neg_lo:[0,0,1] neg_hi:[0,0,1]
	;; [unrolled: 1-line block ×3, first 2 shown]
	v_pk_add_f16 v13, v11, v13 neg_lo:[0,1] neg_hi:[0,1]
	v_pk_add_f16 v14, v21, v14 neg_lo:[0,1] neg_hi:[0,1]
	v_pk_fma_f16 v11, v11, 2.0, v13 op_sel_hi:[1,0,1] neg_lo:[0,0,1] neg_hi:[0,0,1]
	v_pk_fma_f16 v21, v21, 2.0, v14 op_sel_hi:[1,0,1] neg_lo:[0,0,1] neg_hi:[0,0,1]
	v_pk_add_f16 v21, v11, v21 neg_lo:[0,1] neg_hi:[0,1]
	v_pk_fma_f16 v25, v11, 2.0, v21 op_sel_hi:[1,0,1] neg_lo:[0,0,1] neg_hi:[0,0,1]
	v_mad_u32_u24 v11, v0, 60, v23
	s_waitcnt lgkmcnt(0)
	; wave barrier
	ds_write2_b32 v11, v25, v1 offset1:1
	v_fma_f16 v1, v29, s1, v27
	v_fma_f16 v25, v17, s1, v1
	;; [unrolled: 1-line block ×8, first 2 shown]
	v_add_f16_sdwa v28, v5, v15 dst_sel:DWORD dst_unused:UNUSED_PAD src0_sel:DWORD src1_sel:WORD_1
	v_lshrrev_b32_e32 v1, 16, v5
	v_add_f16_sdwa v29, v20, v16 dst_sel:DWORD dst_unused:UNUSED_PAD src0_sel:DWORD src1_sel:WORD_1
	v_lshrrev_b32_e32 v33, 16, v20
	v_sub_f16_e32 v15, v1, v15
	v_fma_f16 v5, v5, 2.0, -v28
	v_sub_f16_e32 v16, v33, v16
	v_fma_f16 v20, v20, 2.0, -v29
	v_fma_f16 v1, v1, 2.0, -v15
	;; [unrolled: 1-line block ×3, first 2 shown]
	v_fma_f16 v37, v20, s0, v5
	v_fma_f16 v37, v33, s1, v37
	;; [unrolled: 1-line block ×3, first 2 shown]
	v_fma_f16 v27, v27, 2.0, -v25
	v_fma_f16 v32, v32, 2.0, -v26
	v_fma_f16 v20, v20, s0, v33
	v_fma_f16 v22, v22, 2.0, -v17
	v_fma_f16 v24, v24, 2.0, -v18
	s_movk_i32 s7, 0x3b64
	v_fma_f16 v33, v32, s6, v27
	v_fma_f16 v33, v24, s7, v33
	;; [unrolled: 1-line block ×4, first 2 shown]
	v_fma_f16 v27, v27, 2.0, -v33
	v_fma_f16 v22, v22, 2.0, -v24
	v_fma_f16 v5, v5, 2.0, -v37
	v_fma_f16 v1, v1, 2.0, -v20
	v_pack_b32_f16 v22, v27, v22
	v_pack_b32_f16 v1, v5, v1
	ds_write2_b32 v11, v1, v22 offset0:2 offset1:3
	v_fma_f16 v1, v35, s5, v31
	v_fma_f16 v22, v12, s7, v1
	;; [unrolled: 1-line block ×4, first 2 shown]
	v_lshrrev_b32_e32 v1, 16, v13
	v_add_f16_sdwa v27, v13, v14 dst_sel:DWORD dst_unused:UNUSED_PAD src0_sel:DWORD src1_sel:WORD_1
	v_sub_f16_e32 v14, v1, v14
	v_fma_f16 v5, v13, 2.0, -v27
	v_fma_f16 v1, v1, 2.0, -v14
	v_pack_b32_f16 v1, v5, v1
	v_fma_f16 v5, v31, 2.0, -v22
	v_fma_f16 v13, v30, 2.0, -v12
	v_pack_b32_f16 v5, v5, v13
	ds_write2_b32 v11, v1, v5 offset0:4 offset1:5
	v_fma_f16 v1, v29, s1, v28
	v_fma_f16 v13, v16, s1, v1
	;; [unrolled: 1-line block ×8, first 2 shown]
	v_fma_f16 v18, v25, 2.0, -v1
	v_fma_f16 v17, v17, 2.0, -v5
	v_pack_b32_f16 v17, v18, v17
	v_fma_f16 v18, v28, 2.0, -v13
	v_fma_f16 v15, v15, 2.0, -v16
	v_pack_b32_f16 v15, v18, v15
	ds_write2_b32 v11, v15, v17 offset0:6 offset1:7
	v_pack_b32_f16 v15, v34, v36
	v_pack_b32_f16 v14, v27, v14
	;; [unrolled: 1-line block ×3, first 2 shown]
	ds_write2_b32 v11, v21, v15 offset0:8 offset1:9
	v_pack_b32_f16 v15, v33, v24
	v_pack_b32_f16 v17, v37, v20
	ds_write2_b32 v11, v14, v12 offset0:12 offset1:13
	v_pack_b32_f16 v12, v13, v16
	v_pack_b32_f16 v13, v1, v5
	v_lshl_add_u32 v28, v4, 2, 0
	ds_write2_b32 v11, v17, v15 offset0:10 offset1:11
	ds_write2_b32 v11, v12, v13 offset0:14 offset1:15
	s_waitcnt lgkmcnt(0)
	; wave barrier
	s_waitcnt lgkmcnt(0)
	v_lshl_add_u32 v27, v10, 2, 0
	ds_read2_b32 v[21:22], v19 offset1:48
	ds_read2_b32 v[17:18], v19 offset0:96 offset1:144
	v_lshl_add_u32 v26, v9, 2, 0
	ds_read2_b32 v[19:20], v7 offset0:48 offset1:96
	ds_read2_b32 v[15:16], v7 offset0:144 offset1:192
	v_lshl_add_u32 v25, v6, 2, 0
	ds_read_b32 v33, v28
	ds_read_b32 v32, v27
	;; [unrolled: 1-line block ×4, first 2 shown]
	ds_read_b32 v34, v23 offset:2816
	ds_read2st64_b32 v[13:14], v23 offset1:4
	v_cmp_gt_u32_e64 s[0:1], 16, v0
	v_lshl_add_u32 v24, v8, 2, 0
                                        ; implicit-def: $vgpr29
                                        ; implicit-def: $vgpr7
                                        ; implicit-def: $vgpr12
	s_and_saveexec_b64 s[4:5], s[0:1]
	s_cbranch_execz .LBB0_15
; %bb.14:
	s_movk_i32 s6, 0xffc4
	v_mad_i32_i24 v5, v0, s6, v11
	v_add_u32_e32 v5, 0xc0, v5
	ds_read_b32 v1, v24
	ds_read2st64_b32 v[11:12], v5 offset0:7 offset1:11
	s_waitcnt lgkmcnt(1)
	v_lshrrev_b32_e32 v5, 16, v1
	s_waitcnt lgkmcnt(0)
	v_lshrrev_b32_e32 v7, 16, v11
	v_lshrrev_b32_e32 v29, 16, v12
.LBB0_15:
	s_or_b64 exec, exec, s[4:5]
	v_and_b32_e32 v37, 15, v0
	v_lshlrev_b32_e32 v35, 3, v37
	global_load_dwordx2 v[35:36], v35, s[8:9]
	s_waitcnt lgkmcnt(9)
	v_lshrrev_b32_e32 v38, 16, v21
	s_waitcnt lgkmcnt(7)
	v_lshrrev_b32_e32 v41, 16, v20
	v_lshrrev_b32_e32 v39, 16, v19
	;; [unrolled: 1-line block ×4, first 2 shown]
	s_waitcnt lgkmcnt(6)
	v_lshrrev_b32_e32 v50, 16, v15
	v_lshrrev_b32_e32 v52, 16, v16
	s_mov_b32 s6, 0xbaee
	s_movk_i32 s7, 0x3aee
	s_waitcnt lgkmcnt(0)
	; wave barrier
	s_waitcnt vmcnt(0) lgkmcnt(0)
	v_mul_f16_sdwa v42, v36, v38 dst_sel:DWORD dst_unused:UNUSED_PAD src0_sel:WORD_1 src1_sel:DWORD
	v_mul_f16_sdwa v43, v36, v21 dst_sel:DWORD dst_unused:UNUSED_PAD src0_sel:WORD_1 src1_sel:DWORD
	v_fma_f16 v21, v36, v21, v42
	v_mul_f16_sdwa v42, v35, v41 dst_sel:DWORD dst_unused:UNUSED_PAD src0_sel:WORD_1 src1_sel:DWORD
	v_mul_f16_sdwa v44, v35, v39 dst_sel:DWORD dst_unused:UNUSED_PAD src0_sel:WORD_1 src1_sel:DWORD
	;; [unrolled: 1-line block ×3, first 2 shown]
	v_fma_f16 v42, v35, v20, v42
	v_mul_f16_sdwa v20, v35, v20 dst_sel:DWORD dst_unused:UNUSED_PAD src0_sel:WORD_1 src1_sel:DWORD
	v_mul_f16_sdwa v46, v36, v22 dst_sel:DWORD dst_unused:UNUSED_PAD src0_sel:WORD_1 src1_sel:DWORD
	v_fma_f16 v22, v36, v22, v45
	v_mul_f16_sdwa v45, v35, v19 dst_sel:DWORD dst_unused:UNUSED_PAD src0_sel:WORD_1 src1_sel:DWORD
	v_fma_f16 v19, v35, v19, v44
	v_lshrrev_b32_e32 v44, 16, v17
	v_fma_f16 v20, v35, v41, -v20
	v_lshrrev_b32_e32 v41, 16, v34
	v_mul_f16_sdwa v47, v36, v44 dst_sel:DWORD dst_unused:UNUSED_PAD src0_sel:WORD_1 src1_sel:DWORD
	v_mul_f16_sdwa v49, v36, v48 dst_sel:DWORD dst_unused:UNUSED_PAD src0_sel:WORD_1 src1_sel:DWORD
	v_fma_f16 v38, v36, v38, -v43
	v_mul_f16_sdwa v43, v36, v41 dst_sel:DWORD dst_unused:UNUSED_PAD src0_sel:WORD_1 src1_sel:DWORD
	v_fma_f16 v47, v36, v17, v47
	v_fma_f16 v49, v36, v18, v49
	v_mul_f16_sdwa v17, v36, v17 dst_sel:DWORD dst_unused:UNUSED_PAD src0_sel:WORD_1 src1_sel:DWORD
	v_mul_f16_sdwa v18, v36, v18 dst_sel:DWORD dst_unused:UNUSED_PAD src0_sel:WORD_1 src1_sel:DWORD
	v_fma_f16 v43, v36, v34, v43
	v_mul_f16_sdwa v34, v36, v34 dst_sel:DWORD dst_unused:UNUSED_PAD src0_sel:WORD_1 src1_sel:DWORD
	v_fma_f16 v40, v36, v40, -v46
	v_fma_f16 v17, v36, v44, -v17
	;; [unrolled: 1-line block ×4, first 2 shown]
	v_lshrrev_b32_e32 v36, 16, v14
	v_mul_f16_sdwa v41, v35, v14 dst_sel:DWORD dst_unused:UNUSED_PAD src0_sel:WORD_1 src1_sel:DWORD
	v_mul_f16_sdwa v51, v35, v50 dst_sel:DWORD dst_unused:UNUSED_PAD src0_sel:WORD_1 src1_sel:DWORD
	;; [unrolled: 1-line block ×3, first 2 shown]
	v_fma_f16 v41, v35, v36, -v41
	v_mul_f16_sdwa v36, v35, v36 dst_sel:DWORD dst_unused:UNUSED_PAD src0_sel:WORD_1 src1_sel:DWORD
	v_fma_f16 v51, v35, v15, v51
	v_fma_f16 v53, v35, v16, v53
	v_mul_f16_sdwa v15, v35, v15 dst_sel:DWORD dst_unused:UNUSED_PAD src0_sel:WORD_1 src1_sel:DWORD
	v_mul_f16_sdwa v16, v35, v16 dst_sel:DWORD dst_unused:UNUSED_PAD src0_sel:WORD_1 src1_sel:DWORD
	v_fma_f16 v14, v35, v14, v36
	v_fma_f16 v39, v35, v39, -v45
	v_fma_f16 v15, v35, v50, -v15
	v_fma_f16 v16, v35, v52, -v16
	v_add_f16_e32 v35, v14, v21
	v_fma_f16 v35, v35, -0.5, v13
	v_lshrrev_b32_e32 v36, 16, v13
	v_add_f16_e32 v13, v13, v14
	v_sub_f16_e32 v14, v14, v21
	v_add_f16_e32 v13, v13, v21
	v_sub_f16_e32 v21, v41, v38
	v_add_f16_e32 v44, v36, v41
	v_add_f16_e32 v41, v41, v38
	;; [unrolled: 1-line block ×3, first 2 shown]
	v_fma_f16 v36, v41, -0.5, v36
	v_pack_b32_f16 v13, v13, v38
	v_fma_f16 v38, v21, s6, v35
	v_fma_f16 v41, v14, s7, v36
	v_pack_b32_f16 v38, v38, v41
	v_lshrrev_b32_e32 v41, 4, v0
	v_mul_u32_u24_e32 v41, 48, v41
	v_or_b32_e32 v41, v41, v37
	v_lshl_add_u32 v41, v41, 2, 0
	ds_write2_b32 v41, v13, v38 offset1:16
	v_lshrrev_b32_e32 v13, 16, v33
	v_sub_f16_e32 v38, v39, v40
	v_add_f16_e32 v44, v13, v39
	v_add_f16_e32 v39, v39, v40
	v_fma_f16 v21, v21, s7, v35
	v_add_f16_e32 v35, v19, v22
	v_fma_f16 v13, v39, -0.5, v13
	v_fma_f16 v35, v35, -0.5, v33
	v_add_f16_e32 v33, v33, v19
	v_sub_f16_e32 v19, v19, v22
	v_add_f16_e32 v33, v33, v22
	v_fma_f16 v22, v19, s7, v13
	v_fma_f16 v13, v19, s6, v13
	v_add_f16_e32 v19, v42, v47
	v_fma_f16 v14, v14, s6, v36
	v_fma_f16 v36, v38, s6, v35
	v_fma_f16 v35, v38, s7, v35
	v_fma_f16 v19, v19, -0.5, v32
	v_sub_f16_e32 v38, v20, v17
	v_fma_f16 v39, v38, s6, v19
	v_fma_f16 v19, v38, s7, v19
	v_lshrrev_b32_e32 v38, 16, v32
	v_add_f16_e32 v40, v44, v40
	v_add_f16_e32 v44, v38, v20
	;; [unrolled: 1-line block ×4, first 2 shown]
	v_fma_f16 v17, v17, -0.5, v38
	v_add_f16_e32 v20, v32, v42
	v_sub_f16_e32 v32, v42, v47
	v_fma_f16 v38, v32, s7, v17
	v_fma_f16 v17, v32, s6, v17
	v_add_f16_e32 v32, v51, v49
	v_fma_f16 v32, v32, -0.5, v31
	v_sub_f16_e32 v42, v15, v18
	v_fma_f16 v45, v42, s6, v32
	v_fma_f16 v32, v42, s7, v32
	v_lshrrev_b32_e32 v42, 16, v31
	v_pack_b32_f16 v14, v21, v14
	v_add_f16_e32 v46, v42, v15
	v_add_f16_e32 v15, v15, v18
	ds_write_b32 v41, v14 offset:128
	v_add_f16_e32 v14, v53, v43
	v_add_f16_e32 v46, v46, v18
	v_fma_f16 v15, v15, -0.5, v42
	v_add_f16_e32 v18, v31, v51
	v_sub_f16_e32 v31, v51, v49
	v_fma_f16 v14, v14, -0.5, v30
	v_sub_f16_e32 v21, v16, v34
	v_fma_f16 v42, v31, s7, v15
	v_fma_f16 v15, v31, s6, v15
	v_fma_f16 v31, v21, s6, v14
	v_fma_f16 v14, v21, s7, v14
	v_lshrrev_b32_e32 v21, 16, v30
	v_add_f16_e32 v41, v21, v16
	v_add_f16_e32 v16, v16, v34
	v_fma_f16 v16, v16, -0.5, v21
	v_add_f16_e32 v21, v30, v53
	v_lshrrev_b32_e32 v30, 4, v4
	v_mul_lo_u32 v30, v30, 48
	v_add_f16_e32 v41, v41, v34
	v_sub_f16_e32 v34, v53, v43
	v_add_f16_e32 v21, v21, v43
	v_fma_f16 v43, v34, s7, v16
	v_fma_f16 v16, v34, s6, v16
	v_or_b32_e32 v30, v30, v37
	v_lshrrev_b32_e32 v34, 4, v10
	v_lshl_add_u32 v30, v30, 2, 0
	v_pack_b32_f16 v33, v33, v40
	v_pack_b32_f16 v22, v36, v22
	v_mul_lo_u32 v34, v34, 48
	v_pack_b32_f16 v13, v35, v13
	ds_write2_b32 v30, v33, v22 offset1:16
	ds_write_b32 v30, v13 offset:128
	v_lshrrev_b32_e32 v30, 4, v9
	v_mul_lo_u32 v30, v30, 48
	v_pack_b32_f16 v17, v19, v17
	v_lshrrev_b32_e32 v19, 4, v6
	v_add_f16_e32 v20, v20, v47
	v_or_b32_e32 v13, v34, v37
	v_mul_lo_u32 v19, v19, 48
	v_lshl_add_u32 v13, v13, 2, 0
	v_pack_b32_f16 v20, v20, v44
	v_pack_b32_f16 v22, v39, v38
	v_add_f16_e32 v18, v18, v49
	ds_write2_b32 v13, v20, v22 offset1:16
	ds_write_b32 v13, v17 offset:128
	v_or_b32_e32 v13, v30, v37
	v_lshl_add_u32 v13, v13, 2, 0
	v_pack_b32_f16 v17, v18, v46
	v_pack_b32_f16 v18, v45, v42
	v_pack_b32_f16 v15, v32, v15
	ds_write2_b32 v13, v17, v18 offset1:16
	ds_write_b32 v13, v15 offset:128
	v_or_b32_e32 v13, v19, v37
	v_lshl_add_u32 v13, v13, 2, 0
	v_pack_b32_f16 v15, v21, v41
	v_pack_b32_f16 v17, v31, v43
	;; [unrolled: 1-line block ×3, first 2 shown]
	ds_write2_b32 v13, v15, v17 offset1:16
	ds_write_b32 v13, v14 offset:128
	s_and_saveexec_b64 s[4:5], s[0:1]
	s_cbranch_execz .LBB0_17
; %bb.16:
	v_lshlrev_b32_e32 v13, 3, v0
	v_and_b32_e32 v13, 0x78, v13
	global_load_dwordx2 v[13:14], v13, s[8:9]
	v_add_u32_e32 v15, 0x800, v23
	s_waitcnt vmcnt(0)
	v_mul_f16_sdwa v16, v12, v14 dst_sel:DWORD dst_unused:UNUSED_PAD src0_sel:DWORD src1_sel:WORD_1
	v_mul_f16_sdwa v17, v11, v13 dst_sel:DWORD dst_unused:UNUSED_PAD src0_sel:DWORD src1_sel:WORD_1
	;; [unrolled: 1-line block ×4, first 2 shown]
	v_fma_f16 v16, v29, v14, -v16
	v_fma_f16 v7, v7, v13, -v17
	v_fma_f16 v11, v11, v13, v18
	v_fma_f16 v12, v12, v14, v19
	v_add_f16_e32 v14, v1, v11
	v_add_f16_e32 v17, v7, v16
	v_sub_f16_e32 v18, v11, v12
	v_add_f16_e32 v11, v11, v12
	v_add_f16_e32 v13, v5, v7
	v_sub_f16_e32 v7, v7, v16
	v_fma_f16 v5, v17, -0.5, v5
	v_fma_f16 v1, v11, -0.5, v1
	v_add_f16_e32 v13, v13, v16
	v_add_f16_e32 v12, v14, v12
	v_fma_f16 v11, v18, s6, v5
	v_fma_f16 v5, v18, s7, v5
	;; [unrolled: 1-line block ×4, first 2 shown]
	v_pack_b32_f16 v7, v12, v13
	v_pack_b32_f16 v1, v1, v5
	;; [unrolled: 1-line block ×3, first 2 shown]
	ds_write2_b32 v15, v7, v1 offset0:208 offset1:224
	ds_write_b32 v23, v5 offset:3008
.LBB0_17:
	s_or_b64 exec, exec, s[4:5]
	v_mul_u32_u24_e32 v11, 15, v0
	v_lshlrev_b32_e32 v47, 2, v11
	s_waitcnt lgkmcnt(0)
	; wave barrier
	s_waitcnt lgkmcnt(0)
	ds_read_b32 v7, v23
	ds_read_b32 v31, v28
	;; [unrolled: 1-line block ×6, first 2 shown]
	global_load_dwordx4 v[11:14], v47, s[8:9] offset:128
	s_waitcnt lgkmcnt(4)
	v_lshrrev_b32_e32 v48, 16, v31
	v_add_u32_e32 v1, 0x400, v23
	ds_read2_b32 v[15:16], v1 offset0:32 offset1:80
	s_waitcnt lgkmcnt(1)
	v_lshrrev_b32_e32 v36, 16, v35
	ds_read2_b32 v[17:18], v1 offset0:128 offset1:176
	v_add_u32_e32 v5, 0x600, v23
	ds_read2_b32 v[19:20], v5 offset0:96 offset1:144
	s_waitcnt lgkmcnt(2)
	v_lshrrev_b32_e32 v37, 16, v15
	v_lshrrev_b32_e32 v38, 16, v16
	s_waitcnt lgkmcnt(1)
	v_lshrrev_b32_e32 v39, 16, v17
	v_lshrrev_b32_e32 v40, 16, v18
	v_add_u32_e32 v5, 0x800, v23
	ds_read2_b32 v[21:22], v5 offset0:64 offset1:112
	s_waitcnt lgkmcnt(1)
	v_lshrrev_b32_e32 v41, 16, v19
	v_lshrrev_b32_e32 v42, 16, v20
	ds_read2_b32 v[29:30], v5 offset0:160 offset1:208
	s_mov_b32 s0, 0xb9a8
	s_waitcnt lgkmcnt(1)
	v_lshrrev_b32_e32 v43, 16, v21
	v_lshrrev_b32_e32 v44, 16, v22
	s_movk_i32 s1, 0x39a8
	s_waitcnt lgkmcnt(0)
	v_lshrrev_b32_e32 v45, 16, v29
	v_lshrrev_b32_e32 v46, 16, v30
	s_mov_b32 s4, 0xbb64
	s_movk_i32 s5, 0x361f
	s_mov_b32 s6, 0xb61f
	s_movk_i32 s7, 0x3b64
	s_waitcnt vmcnt(0)
	v_mul_f16_sdwa v49, v11, v48 dst_sel:DWORD dst_unused:UNUSED_PAD src0_sel:WORD_1 src1_sel:DWORD
	v_fma_f16 v49, v11, v31, v49
	v_mul_f16_sdwa v31, v11, v31 dst_sel:DWORD dst_unused:UNUSED_PAD src0_sel:WORD_1 src1_sel:DWORD
	v_fma_f16 v31, v11, v48, -v31
	v_lshrrev_b32_e32 v11, 16, v32
	v_mul_f16_sdwa v48, v12, v11 dst_sel:DWORD dst_unused:UNUSED_PAD src0_sel:WORD_1 src1_sel:DWORD
	v_fma_f16 v48, v12, v32, v48
	v_mul_f16_sdwa v32, v12, v32 dst_sel:DWORD dst_unused:UNUSED_PAD src0_sel:WORD_1 src1_sel:DWORD
	v_fma_f16 v32, v12, v11, -v32
	v_lshrrev_b32_e32 v11, 16, v33
	;; [unrolled: 5-line block ×3, first 2 shown]
	v_mul_f16_sdwa v12, v14, v11 dst_sel:DWORD dst_unused:UNUSED_PAD src0_sel:WORD_1 src1_sel:DWORD
	v_fma_f16 v51, v14, v34, v12
	v_mul_f16_sdwa v12, v14, v34 dst_sel:DWORD dst_unused:UNUSED_PAD src0_sel:WORD_1 src1_sel:DWORD
	v_fma_f16 v34, v14, v11, -v12
	global_load_dwordx4 v[11:14], v47, s[8:9] offset:144
	s_waitcnt vmcnt(0)
	v_mul_f16_sdwa v52, v36, v11 dst_sel:DWORD dst_unused:UNUSED_PAD src0_sel:DWORD src1_sel:WORD_1
	v_fma_f16 v52, v35, v11, v52
	v_mul_f16_sdwa v35, v35, v11 dst_sel:DWORD dst_unused:UNUSED_PAD src0_sel:DWORD src1_sel:WORD_1
	v_fma_f16 v35, v36, v11, -v35
	v_mul_f16_sdwa v11, v37, v12 dst_sel:DWORD dst_unused:UNUSED_PAD src0_sel:DWORD src1_sel:WORD_1
	v_fma_f16 v36, v15, v12, v11
	v_mul_f16_sdwa v11, v15, v12 dst_sel:DWORD dst_unused:UNUSED_PAD src0_sel:DWORD src1_sel:WORD_1
	v_fma_f16 v15, v37, v12, -v11
	;; [unrolled: 4-line block ×4, first 2 shown]
	global_load_dwordx4 v[11:14], v47, s[8:9] offset:160
	v_sub_f16_e32 v38, v7, v38
	s_waitcnt vmcnt(0)
	v_mul_f16_sdwa v39, v40, v11 dst_sel:DWORD dst_unused:UNUSED_PAD src0_sel:DWORD src1_sel:WORD_1
	v_fma_f16 v39, v18, v11, v39
	v_mul_f16_sdwa v18, v18, v11 dst_sel:DWORD dst_unused:UNUSED_PAD src0_sel:DWORD src1_sel:WORD_1
	v_fma_f16 v18, v40, v11, -v18
	v_mul_f16_sdwa v11, v41, v12 dst_sel:DWORD dst_unused:UNUSED_PAD src0_sel:DWORD src1_sel:WORD_1
	v_fma_f16 v40, v19, v12, v11
	v_mul_f16_sdwa v11, v19, v12 dst_sel:DWORD dst_unused:UNUSED_PAD src0_sel:DWORD src1_sel:WORD_1
	v_fma_f16 v19, v41, v12, -v11
	;; [unrolled: 4-line block ×4, first 2 shown]
	global_load_dwordx3 v[11:13], v47, s[8:9] offset:176
	v_sub_f16_e32 v42, v51, v42
	v_sub_f16_e32 v14, v34, v14
	v_sub_f16_e32 v40, v48, v40
	v_sub_f16_e32 v19, v32, v19
	v_fma_f16 v43, v51, 2.0, -v42
	v_fma_f16 v34, v34, 2.0, -v14
	v_add_f16_e32 v14, v38, v14
	v_fma_f16 v32, v32, 2.0, -v19
	v_sub_f16_e32 v39, v49, v39
	v_sub_f16_e32 v18, v31, v18
	;; [unrolled: 1-line block ×4, first 2 shown]
	v_fma_f16 v31, v31, 2.0, -v18
	v_fma_f16 v47, v50, 2.0, -v41
	;; [unrolled: 1-line block ×3, first 2 shown]
	s_waitcnt lgkmcnt(0)
	; wave barrier
	s_waitcnt vmcnt(0)
	v_mul_f16_sdwa v21, v44, v11 dst_sel:DWORD dst_unused:UNUSED_PAD src0_sel:DWORD src1_sel:WORD_1
	v_fma_f16 v21, v22, v11, v21
	v_mul_f16_sdwa v22, v22, v11 dst_sel:DWORD dst_unused:UNUSED_PAD src0_sel:DWORD src1_sel:WORD_1
	v_fma_f16 v11, v44, v11, -v22
	v_mul_f16_sdwa v22, v45, v12 dst_sel:DWORD dst_unused:UNUSED_PAD src0_sel:DWORD src1_sel:WORD_1
	v_fma_f16 v22, v29, v12, v22
	v_mul_f16_sdwa v29, v29, v12 dst_sel:DWORD dst_unused:UNUSED_PAD src0_sel:DWORD src1_sel:WORD_1
	v_fma_f16 v12, v45, v12, -v29
	;; [unrolled: 4-line block ×3, first 2 shown]
	v_lshrrev_b32_e32 v30, 16, v7
	v_sub_f16_e32 v17, v30, v17
	v_sub_f16_e32 v22, v36, v22
	;; [unrolled: 1-line block ×3, first 2 shown]
	v_fma_f16 v36, v36, 2.0, -v22
	v_fma_f16 v15, v15, 2.0, -v12
	v_sub_f16_e32 v42, v17, v42
	v_add_f16_e32 v12, v40, v12
	v_sub_f16_e32 v22, v19, v22
	v_fma_f16 v7, v7, 2.0, -v38
	v_fma_f16 v30, v30, 2.0, -v17
	;; [unrolled: 1-line block ×3, first 2 shown]
	v_sub_f16_e32 v21, v52, v21
	v_sub_f16_e32 v11, v35, v11
	;; [unrolled: 1-line block ×4, first 2 shown]
	v_fma_f16 v38, v38, 2.0, -v14
	v_fma_f16 v17, v17, 2.0, -v42
	;; [unrolled: 1-line block ×9, first 2 shown]
	v_add_f16_e32 v11, v39, v11
	v_sub_f16_e32 v21, v18, v21
	v_add_f16_e32 v13, v41, v13
	v_sub_f16_e32 v29, v20, v29
	v_fma_f16 v48, v40, s0, v38
	v_fma_f16 v49, v19, s0, v17
	v_fma_f16 v39, v39, 2.0, -v11
	v_fma_f16 v18, v18, 2.0, -v21
	;; [unrolled: 1-line block ×4, first 2 shown]
	v_fma_f16 v19, v19, s1, v48
	v_fma_f16 v40, v40, s0, v49
	;; [unrolled: 1-line block ×8, first 2 shown]
	v_sub_f16_e32 v43, v7, v43
	v_sub_f16_e32 v34, v30, v34
	;; [unrolled: 1-line block ×8, first 2 shown]
	v_fma_f16 v20, v20, s1, v48
	v_fma_f16 v41, v41, s0, v49
	v_fma_f16 v7, v7, 2.0, -v43
	v_fma_f16 v30, v30, 2.0, -v34
	;; [unrolled: 1-line block ×10, first 2 shown]
	v_add_f16_e32 v15, v43, v15
	v_sub_f16_e32 v36, v34, v36
	v_fma_f16 v39, v39, 2.0, -v20
	v_fma_f16 v18, v18, 2.0, -v41
	v_add_f16_e32 v16, v46, v16
	v_sub_f16_e32 v37, v35, v37
	v_fma_f16 v48, v13, s1, v11
	v_fma_f16 v49, v29, s1, v21
	v_sub_f16_e32 v44, v7, v44
	v_sub_f16_e32 v32, v30, v32
	v_fma_f16 v43, v43, 2.0, -v15
	v_fma_f16 v34, v34, 2.0, -v36
	v_sub_f16_e32 v47, v45, v47
	v_sub_f16_e32 v33, v31, v33
	v_fma_f16 v46, v46, 2.0, -v16
	v_fma_f16 v35, v35, 2.0, -v37
	v_fma_f16 v29, v29, s1, v48
	v_fma_f16 v13, v13, s0, v49
	;; [unrolled: 1-line block ×4, first 2 shown]
	v_fma_f16 v7, v7, 2.0, -v44
	v_fma_f16 v30, v30, 2.0, -v32
	;; [unrolled: 1-line block ×8, first 2 shown]
	v_fma_f16 v18, v18, s5, v48
	v_fma_f16 v39, v39, s6, v49
	;; [unrolled: 1-line block ×4, first 2 shown]
	v_sub_f16_e32 v45, v7, v45
	v_sub_f16_e32 v31, v30, v31
	v_fma_f16 v35, v35, s1, v48
	v_fma_f16 v46, v46, s0, v49
	v_fma_f16 v48, v11, s6, v14
	v_fma_f16 v49, v21, s6, v42
	v_fma_f16 v7, v7, 2.0, -v45
	v_fma_f16 v30, v30, 2.0, -v31
	;; [unrolled: 1-line block ×4, first 2 shown]
	v_fma_f16 v21, v21, s7, v48
	v_fma_f16 v11, v11, s4, v49
	;; [unrolled: 1-line block ×4, first 2 shown]
	v_fma_f16 v43, v43, 2.0, -v35
	v_fma_f16 v34, v34, 2.0, -v46
	;; [unrolled: 1-line block ×4, first 2 shown]
	v_add_f16_e32 v33, v44, v33
	v_sub_f16_e32 v47, v32, v47
	v_fma_f16 v41, v41, s7, v48
	v_fma_f16 v20, v20, s4, v49
	;; [unrolled: 1-line block ×4, first 2 shown]
	v_pack_b32_f16 v7, v7, v30
	v_pack_b32_f16 v17, v38, v17
	v_fma_f16 v44, v44, 2.0, -v33
	v_fma_f16 v32, v32, 2.0, -v47
	v_fma_f16 v37, v37, s1, v48
	v_fma_f16 v16, v16, s0, v49
	v_fma_f16 v48, v29, s7, v22
	v_fma_f16 v49, v13, s7, v12
	ds_write2_b32 v23, v7, v17 offset1:48
	v_pack_b32_f16 v7, v43, v34
	v_pack_b32_f16 v14, v14, v42
	v_fma_f16 v19, v19, 2.0, -v41
	v_fma_f16 v40, v40, 2.0, -v20
	;; [unrolled: 1-line block ×4, first 2 shown]
	v_fma_f16 v13, v13, s5, v48
	v_fma_f16 v29, v29, s6, v49
	ds_write2_b32 v23, v7, v14 offset0:96 offset1:144
	v_pack_b32_f16 v7, v44, v32
	v_fma_f16 v22, v22, 2.0, -v13
	v_fma_f16 v12, v12, 2.0, -v29
	ds_write_b32 v25, v7
	v_pack_b32_f16 v7, v19, v40
	v_pack_b32_f16 v14, v15, v36
	v_add_u32_e32 v15, 0x200, v23
	ds_write2_b32 v15, v7, v14 offset0:112 offset1:160
	v_pack_b32_f16 v7, v22, v12
	v_pack_b32_f16 v12, v45, v31
	ds_write2_b32 v1, v7, v12 offset0:80 offset1:128
	v_pack_b32_f16 v7, v18, v39
	v_pack_b32_f16 v12, v35, v46
	;; [unrolled: 3-line block ×4, first 2 shown]
	ds_write2_b32 v5, v1, v7 offset0:112 offset1:160
	v_pack_b32_f16 v1, v13, v29
	ds_write_b32 v23, v1 offset:2880
	s_waitcnt lgkmcnt(0)
	; wave barrier
	s_waitcnt lgkmcnt(0)
	ds_read_b32 v5, v23
	v_lshlrev_b32_e32 v1, 2, v0
	v_sub_u32_e32 v14, 0, v1
	v_cmp_ne_u32_e64 s[0:1], 0, v0
                                        ; implicit-def: $vgpr16
                                        ; implicit-def: $vgpr7
                                        ; implicit-def: $vgpr15
                                        ; implicit-def: $vgpr12_vgpr13
	s_and_saveexec_b64 s[4:5], s[0:1]
	s_xor_b64 s[4:5], exec, s[4:5]
	s_cbranch_execz .LBB0_19
; %bb.18:
	v_mov_b32_e32 v1, 0
	v_lshlrev_b64 v[11:12], 2, v[0:1]
	v_mov_b32_e32 v7, s9
	v_add_co_u32_e64 v11, s[0:1], s8, v11
	v_addc_co_u32_e64 v12, s[0:1], v7, v12, s[0:1]
	global_load_dword v7, v[11:12], off offset:3008
	ds_read_b32 v11, v14 offset:3072
	s_mov_b32 s0, 0xffff
	s_waitcnt lgkmcnt(0)
	v_pk_add_f16 v12, v5, v11 neg_lo:[0,1] neg_hi:[0,1]
	v_pk_add_f16 v5, v11, v5
	v_bfi_b32 v11, s0, v12, v5
	v_pk_mul_f16 v11, v11, 0.5 op_sel_hi:[1,0]
	v_bfi_b32 v5, s0, v5, v12
	v_pk_mul_f16 v12, v5, 0.5 op_sel_hi:[1,0]
	s_waitcnt vmcnt(0)
	v_pk_mul_f16 v13, v7, v11 op_sel:[1,0]
	v_pk_mul_f16 v11, v7, v11 op_sel_hi:[0,1]
	v_pk_fma_f16 v5, v5, 0.5, v13 op_sel_hi:[1,0,1]
	v_sub_f16_e32 v7, v12, v13
	v_sub_f16_sdwa v12, v13, v12 dst_sel:DWORD dst_unused:UNUSED_PAD src0_sel:WORD_1 src1_sel:WORD_1
	v_pk_add_f16 v13, v5, v11 op_sel:[0,1] op_sel_hi:[1,0]
	v_pk_add_f16 v5, v5, v11 op_sel:[0,1] op_sel_hi:[1,0] neg_lo:[0,1] neg_hi:[0,1]
	v_sub_f16_e32 v15, v12, v11
	v_bfi_b32 v16, s0, v13, v5
	v_mov_b32_e32 v13, v1
	v_sub_f16_sdwa v7, v7, v11 dst_sel:DWORD dst_unused:UNUSED_PAD src0_sel:DWORD src1_sel:WORD_1
	v_mov_b32_e32 v12, v0
                                        ; implicit-def: $vgpr5
.LBB0_19:
	s_andn2_saveexec_b64 s[0:1], s[4:5]
	s_cbranch_execz .LBB0_21
; %bb.20:
	v_mov_b32_e32 v15, 0
	ds_read_u16 v1, v15 offset:1538
	s_waitcnt lgkmcnt(1)
	v_alignbit_b32 v11, s0, v5, 16
	v_sub_f16_sdwa v7, v5, v5 dst_sel:DWORD dst_unused:UNUSED_PAD src0_sel:DWORD src1_sel:WORD_1
	v_mov_b32_e32 v12, 0
	v_pk_add_f16 v5, v11, v5
	v_mov_b32_e32 v13, 0
	s_waitcnt lgkmcnt(0)
	v_xor_b32_e32 v1, 0x8000, v1
	v_pack_b32_f16 v16, v5, 0
	ds_write_b16 v15, v1 offset:1538
.LBB0_21:
	s_or_b64 exec, exec, s[0:1]
	s_waitcnt lgkmcnt(0)
	v_mov_b32_e32 v5, 0
	v_lshlrev_b64 v[17:18], 2, v[4:5]
	v_mov_b32_e32 v1, s9
	v_add_co_u32_e64 v17, s[0:1], s8, v17
	v_addc_co_u32_e64 v18, s[0:1], v1, v18, s[0:1]
	global_load_dword v1, v[17:18], off offset:3008
	v_mov_b32_e32 v11, v5
	v_lshlrev_b64 v[10:11], 2, v[10:11]
	v_mov_b32_e32 v4, s9
	v_add_co_u32_e64 v10, s[0:1], s8, v10
	v_addc_co_u32_e64 v11, s[0:1], v4, v11, s[0:1]
	global_load_dword v17, v[10:11], off offset:3008
	v_mov_b32_e32 v10, v5
	v_lshlrev_b64 v[9:10], 2, v[9:10]
	ds_write_b16 v14, v15 offset:3074
	ds_write_b32 v23, v16
	ds_write_b16 v14, v7 offset:3072
	v_add_co_u32_e64 v9, s[0:1], s8, v9
	v_addc_co_u32_e64 v10, s[0:1], v4, v10, s[0:1]
	global_load_dword v18, v[9:10], off offset:3008
	s_add_u32 s5, s8, 0xbc0
	v_lshlrev_b64 v[10:11], 2, v[12:13]
	s_addc_u32 s0, s9, 0
	v_mov_b32_e32 v7, v5
	v_mov_b32_e32 v9, v5
	v_lshlrev_b64 v[4:5], 2, v[6:7]
	v_lshlrev_b64 v[6:7], 2, v[8:9]
	v_mov_b32_e32 v9, s0
	v_add_co_u32_e64 v8, s[0:1], s5, v10
	v_addc_co_u32_e64 v9, s[0:1], v9, v11, s[0:1]
	v_mov_b32_e32 v15, s9
	v_add_co_u32_e64 v4, s[0:1], s8, v4
	v_addc_co_u32_e64 v5, s[0:1], v15, v5, s[0:1]
	v_mov_b32_e32 v16, s9
	v_add_co_u32_e64 v6, s[0:1], s8, v6
	ds_read_b32 v12, v28
	ds_read_b32 v13, v14 offset:2880
	v_addc_co_u32_e64 v7, s[0:1], v16, v7, s[0:1]
	global_load_dword v15, v[4:5], off offset:3008
	global_load_dword v16, v[6:7], off offset:3008
	;; [unrolled: 1-line block ×4, first 2 shown]
	s_mov_b32 s4, 0xffff
	s_waitcnt lgkmcnt(0)
	v_pk_add_f16 v4, v12, v13 neg_lo:[0,1] neg_hi:[0,1]
	v_pk_add_f16 v5, v12, v13
	v_bfi_b32 v6, s4, v4, v5
	v_bfi_b32 v4, s4, v5, v4
	v_pk_mul_f16 v5, v6, 0.5 op_sel_hi:[1,0]
	v_pk_mul_f16 v4, v4, 0.5 op_sel_hi:[1,0]
	s_waitcnt vmcnt(6)
	v_pk_fma_f16 v6, v1, v5, v4 op_sel:[1,0,0]
	v_pk_mul_f16 v7, v1, v5 op_sel_hi:[0,1]
	v_pk_fma_f16 v8, v1, v5, v4 op_sel:[1,0,0] neg_lo:[1,0,0] neg_hi:[1,0,0]
	v_pk_fma_f16 v1, v1, v5, v4 op_sel:[1,0,0] neg_lo:[0,0,1] neg_hi:[0,0,1]
	v_pk_add_f16 v4, v6, v7 op_sel:[0,1] op_sel_hi:[1,0]
	v_pk_add_f16 v5, v6, v7 op_sel:[0,1] op_sel_hi:[1,0] neg_lo:[0,1] neg_hi:[0,1]
	v_pk_add_f16 v6, v8, v7 op_sel:[0,1] op_sel_hi:[1,0] neg_lo:[0,1] neg_hi:[0,1]
	v_pk_add_f16 v1, v1, v7 op_sel:[0,1] op_sel_hi:[1,0] neg_lo:[0,1] neg_hi:[0,1]
	v_bfi_b32 v4, s4, v4, v5
	v_bfi_b32 v1, s4, v6, v1
	ds_write_b32 v28, v4
	ds_write_b32 v14, v1 offset:2880
	ds_read_b32 v1, v27
	ds_read_b32 v4, v14 offset:2688
	s_waitcnt lgkmcnt(0)
	v_pk_add_f16 v5, v1, v4 neg_lo:[0,1] neg_hi:[0,1]
	v_pk_add_f16 v1, v1, v4
	v_bfi_b32 v4, s4, v5, v1
	v_bfi_b32 v1, s4, v1, v5
	v_pk_mul_f16 v4, v4, 0.5 op_sel_hi:[1,0]
	v_pk_mul_f16 v1, v1, 0.5 op_sel_hi:[1,0]
	s_waitcnt vmcnt(5)
	v_pk_fma_f16 v5, v17, v4, v1 op_sel:[1,0,0]
	v_pk_mul_f16 v6, v17, v4 op_sel_hi:[0,1]
	v_pk_fma_f16 v7, v17, v4, v1 op_sel:[1,0,0] neg_lo:[1,0,0] neg_hi:[1,0,0]
	v_pk_fma_f16 v1, v17, v4, v1 op_sel:[1,0,0] neg_lo:[0,0,1] neg_hi:[0,0,1]
	v_pk_add_f16 v4, v5, v6 op_sel:[0,1] op_sel_hi:[1,0]
	v_pk_add_f16 v5, v5, v6 op_sel:[0,1] op_sel_hi:[1,0] neg_lo:[0,1] neg_hi:[0,1]
	v_pk_add_f16 v7, v7, v6 op_sel:[0,1] op_sel_hi:[1,0] neg_lo:[0,1] neg_hi:[0,1]
	v_pk_add_f16 v1, v1, v6 op_sel:[0,1] op_sel_hi:[1,0] neg_lo:[0,1] neg_hi:[0,1]
	v_bfi_b32 v4, s4, v4, v5
	v_bfi_b32 v1, s4, v7, v1
	ds_write_b32 v27, v4
	ds_write_b32 v14, v1 offset:2688
	ds_read_b32 v1, v26
	ds_read_b32 v4, v14 offset:2496
	;; [unrolled: 22-line block ×3, first 2 shown]
	s_waitcnt lgkmcnt(0)
	v_pk_add_f16 v5, v1, v4 neg_lo:[0,1] neg_hi:[0,1]
	v_pk_add_f16 v1, v1, v4
	v_bfi_b32 v4, s4, v5, v1
	v_pk_mul_f16 v4, v4, 0.5 op_sel_hi:[1,0]
	v_bfi_b32 v1, s4, v1, v5
	s_waitcnt vmcnt(3)
	v_pk_mul_f16 v6, v15, v4 op_sel:[1,0]
	v_pk_mul_f16 v5, v1, 0.5 op_sel_hi:[1,0]
	v_pk_fma_f16 v1, v1, 0.5, v6 op_sel_hi:[1,0,1]
	v_pk_mul_f16 v4, v15, v4 op_sel_hi:[0,1]
	v_pk_add_f16 v7, v1, v4 op_sel:[0,1] op_sel_hi:[1,0]
	v_pk_add_f16 v1, v1, v4 op_sel:[0,1] op_sel_hi:[1,0] neg_lo:[0,1] neg_hi:[0,1]
	v_bfi_b32 v1, s4, v7, v1
	v_sub_f16_e32 v7, v5, v6
	v_sub_f16_sdwa v5, v6, v5 dst_sel:DWORD dst_unused:UNUSED_PAD src0_sel:WORD_1 src1_sel:WORD_1
	v_sub_f16_sdwa v7, v7, v4 dst_sel:DWORD dst_unused:UNUSED_PAD src0_sel:DWORD src1_sel:WORD_1
	v_sub_f16_e32 v4, v5, v4
	ds_write_b16 v14, v4 offset:2306
	ds_write_b32 v25, v1
	ds_write_b16 v14, v7 offset:2304
	ds_read_b32 v1, v24
	ds_read_b32 v4, v14 offset:2112
	s_waitcnt lgkmcnt(0)
	v_pk_add_f16 v5, v1, v4 neg_lo:[0,1] neg_hi:[0,1]
	v_pk_add_f16 v1, v1, v4
	v_bfi_b32 v4, s4, v5, v1
	v_bfi_b32 v1, s4, v1, v5
	v_pk_mul_f16 v4, v4, 0.5 op_sel_hi:[1,0]
	v_pk_mul_f16 v1, v1, 0.5 op_sel_hi:[1,0]
	s_waitcnt vmcnt(2)
	v_pk_fma_f16 v5, v16, v4, v1 op_sel:[1,0,0]
	v_pk_mul_f16 v6, v16, v4 op_sel_hi:[0,1]
	v_pk_add_f16 v7, v5, v6 op_sel:[0,1] op_sel_hi:[1,0]
	v_pk_add_f16 v5, v5, v6 op_sel:[0,1] op_sel_hi:[1,0] neg_lo:[0,1] neg_hi:[0,1]
	v_bfi_b32 v5, s4, v7, v5
	v_pk_fma_f16 v7, v16, v4, v1 op_sel:[1,0,0] neg_lo:[1,0,0] neg_hi:[1,0,0]
	v_pk_fma_f16 v1, v16, v4, v1 op_sel:[1,0,0] neg_lo:[0,0,1] neg_hi:[0,0,1]
	v_pk_add_f16 v7, v7, v6 op_sel:[0,1] op_sel_hi:[1,0] neg_lo:[0,1] neg_hi:[0,1]
	v_pk_add_f16 v1, v1, v6 op_sel:[0,1] op_sel_hi:[1,0] neg_lo:[0,1] neg_hi:[0,1]
	v_bfi_b32 v1, s4, v7, v1
	ds_write_b32 v24, v5
	ds_write_b32 v14, v1 offset:2112
	ds_read_b32 v1, v23 offset:1152
	ds_read_b32 v4, v14 offset:1920
	s_waitcnt lgkmcnt(0)
	v_pk_add_f16 v5, v1, v4 neg_lo:[0,1] neg_hi:[0,1]
	v_pk_add_f16 v1, v1, v4
	v_bfi_b32 v4, s4, v5, v1
	v_pk_mul_f16 v4, v4, 0.5 op_sel_hi:[1,0]
	v_bfi_b32 v1, s4, v1, v5
	s_waitcnt vmcnt(1)
	v_pk_mul_f16 v6, v19, v4 op_sel:[1,0]
	v_pk_mul_f16 v5, v1, 0.5 op_sel_hi:[1,0]
	v_pk_fma_f16 v1, v1, 0.5, v6 op_sel_hi:[1,0,1]
	v_pk_mul_f16 v4, v19, v4 op_sel_hi:[0,1]
	v_pk_add_f16 v7, v1, v4 op_sel:[0,1] op_sel_hi:[1,0]
	v_pk_add_f16 v1, v1, v4 op_sel:[0,1] op_sel_hi:[1,0] neg_lo:[0,1] neg_hi:[0,1]
	v_bfi_b32 v1, s4, v7, v1
	v_sub_f16_e32 v7, v5, v6
	v_sub_f16_sdwa v5, v6, v5 dst_sel:DWORD dst_unused:UNUSED_PAD src0_sel:WORD_1 src1_sel:WORD_1
	v_sub_f16_sdwa v7, v7, v4 dst_sel:DWORD dst_unused:UNUSED_PAD src0_sel:DWORD src1_sel:WORD_1
	v_sub_f16_e32 v4, v5, v4
	ds_write_b16 v14, v4 offset:1922
	ds_write_b32 v23, v1 offset:1152
	ds_write_b16 v14, v7 offset:1920
	ds_read_b32 v1, v23 offset:1344
	ds_read_b32 v4, v14 offset:1728
	s_waitcnt lgkmcnt(0)
	v_pk_add_f16 v5, v1, v4 neg_lo:[0,1] neg_hi:[0,1]
	v_pk_add_f16 v1, v1, v4
	v_bfi_b32 v4, s4, v5, v1
	v_bfi_b32 v1, s4, v1, v5
	v_pk_mul_f16 v4, v4, 0.5 op_sel_hi:[1,0]
	v_pk_mul_f16 v1, v1, 0.5 op_sel_hi:[1,0]
	s_waitcnt vmcnt(0)
	v_pk_fma_f16 v5, v20, v4, v1 op_sel:[1,0,0]
	v_pk_mul_f16 v6, v20, v4 op_sel_hi:[0,1]
	v_pk_add_f16 v7, v5, v6 op_sel:[0,1] op_sel_hi:[1,0]
	v_pk_add_f16 v5, v5, v6 op_sel:[0,1] op_sel_hi:[1,0] neg_lo:[0,1] neg_hi:[0,1]
	v_bfi_b32 v5, s4, v7, v5
	v_pk_fma_f16 v7, v20, v4, v1 op_sel:[1,0,0] neg_lo:[1,0,0] neg_hi:[1,0,0]
	v_pk_fma_f16 v1, v20, v4, v1 op_sel:[1,0,0] neg_lo:[0,0,1] neg_hi:[0,0,1]
	v_pk_add_f16 v7, v7, v6 op_sel:[0,1] op_sel_hi:[1,0] neg_lo:[0,1] neg_hi:[0,1]
	v_pk_add_f16 v1, v1, v6 op_sel:[0,1] op_sel_hi:[1,0] neg_lo:[0,1] neg_hi:[0,1]
	v_bfi_b32 v1, s4, v7, v1
	ds_write_b32 v23, v5 offset:1344
	ds_write_b32 v14, v1 offset:1728
	s_waitcnt lgkmcnt(0)
	; wave barrier
	s_waitcnt lgkmcnt(0)
	s_and_saveexec_b64 s[0:1], vcc
	s_cbranch_execz .LBB0_24
; %bb.22:
	ds_read2_b32 v[4:5], v23 offset1:48
	v_mov_b32_e32 v6, s3
	v_add_co_u32_e32 v1, vcc, s2, v2
	v_addc_co_u32_e32 v2, vcc, v6, v3, vcc
	ds_read2_b32 v[6:7], v23 offset0:96 offset1:144
	v_add_co_u32_e32 v8, vcc, v1, v10
	v_addc_co_u32_e32 v9, vcc, v2, v11, vcc
	s_waitcnt lgkmcnt(1)
	global_store_dword v[8:9], v4, off
	global_store_dword v[8:9], v5, off offset:192
	s_waitcnt lgkmcnt(0)
	global_store_dword v[8:9], v6, off offset:384
	ds_read2_b32 v[3:4], v23 offset0:192 offset1:240
	v_add_u32_e32 v10, 0x400, v23
	ds_read2_b32 v[5:6], v10 offset0:32 offset1:80
	ds_read2_b32 v[10:11], v10 offset0:128 offset1:176
	global_store_dword v[8:9], v7, off offset:576
	s_waitcnt lgkmcnt(2)
	global_store_dword v[8:9], v3, off offset:768
	global_store_dword v[8:9], v4, off offset:960
	s_waitcnt lgkmcnt(1)
	global_store_dword v[8:9], v5, off offset:1152
	;; [unrolled: 3-line block ×3, first 2 shown]
	v_add_u32_e32 v3, 0x600, v23
	ds_read2_b32 v[3:4], v3 offset0:96 offset1:144
	v_add_u32_e32 v7, 0x800, v23
	ds_read2_b32 v[5:6], v7 offset0:64 offset1:112
	global_store_dword v[8:9], v11, off offset:1728
	ds_read2_b32 v[10:11], v7 offset0:160 offset1:208
	v_cmp_eq_u32_e32 vcc, 47, v0
	s_waitcnt lgkmcnt(2)
	global_store_dword v[8:9], v3, off offset:1920
	global_store_dword v[8:9], v4, off offset:2112
	s_waitcnt lgkmcnt(1)
	global_store_dword v[8:9], v5, off offset:2304
	global_store_dword v[8:9], v6, off offset:2496
	s_waitcnt lgkmcnt(0)
	global_store_dword v[8:9], v10, off offset:2688
	global_store_dword v[8:9], v11, off offset:2880
	s_and_b64 exec, exec, vcc
	s_cbranch_execz .LBB0_24
; %bb.23:
	v_mov_b32_e32 v0, 0
	ds_read_b32 v0, v0 offset:3072
	s_waitcnt lgkmcnt(0)
	global_store_dword v[1:2], v0, off offset:3072
.LBB0_24:
	s_endpgm
	.section	.rodata,"a",@progbits
	.p2align	6, 0x0
	.amdhsa_kernel fft_rtc_back_len768_factors_16_3_16_wgs_48_tpt_48_halfLds_half_ip_CI_unitstride_sbrr_R2C_dirReg
		.amdhsa_group_segment_fixed_size 0
		.amdhsa_private_segment_fixed_size 0
		.amdhsa_kernarg_size 88
		.amdhsa_user_sgpr_count 6
		.amdhsa_user_sgpr_private_segment_buffer 1
		.amdhsa_user_sgpr_dispatch_ptr 0
		.amdhsa_user_sgpr_queue_ptr 0
		.amdhsa_user_sgpr_kernarg_segment_ptr 1
		.amdhsa_user_sgpr_dispatch_id 0
		.amdhsa_user_sgpr_flat_scratch_init 0
		.amdhsa_user_sgpr_private_segment_size 0
		.amdhsa_uses_dynamic_stack 0
		.amdhsa_system_sgpr_private_segment_wavefront_offset 0
		.amdhsa_system_sgpr_workgroup_id_x 1
		.amdhsa_system_sgpr_workgroup_id_y 0
		.amdhsa_system_sgpr_workgroup_id_z 0
		.amdhsa_system_sgpr_workgroup_info 0
		.amdhsa_system_vgpr_workitem_id 0
		.amdhsa_next_free_vgpr 54
		.amdhsa_next_free_sgpr 22
		.amdhsa_reserve_vcc 1
		.amdhsa_reserve_flat_scratch 0
		.amdhsa_float_round_mode_32 0
		.amdhsa_float_round_mode_16_64 0
		.amdhsa_float_denorm_mode_32 3
		.amdhsa_float_denorm_mode_16_64 3
		.amdhsa_dx10_clamp 1
		.amdhsa_ieee_mode 1
		.amdhsa_fp16_overflow 0
		.amdhsa_exception_fp_ieee_invalid_op 0
		.amdhsa_exception_fp_denorm_src 0
		.amdhsa_exception_fp_ieee_div_zero 0
		.amdhsa_exception_fp_ieee_overflow 0
		.amdhsa_exception_fp_ieee_underflow 0
		.amdhsa_exception_fp_ieee_inexact 0
		.amdhsa_exception_int_div_zero 0
	.end_amdhsa_kernel
	.text
.Lfunc_end0:
	.size	fft_rtc_back_len768_factors_16_3_16_wgs_48_tpt_48_halfLds_half_ip_CI_unitstride_sbrr_R2C_dirReg, .Lfunc_end0-fft_rtc_back_len768_factors_16_3_16_wgs_48_tpt_48_halfLds_half_ip_CI_unitstride_sbrr_R2C_dirReg
                                        ; -- End function
	.section	.AMDGPU.csdata,"",@progbits
; Kernel info:
; codeLenInByte = 8492
; NumSgprs: 26
; NumVgprs: 54
; ScratchSize: 0
; MemoryBound: 0
; FloatMode: 240
; IeeeMode: 1
; LDSByteSize: 0 bytes/workgroup (compile time only)
; SGPRBlocks: 3
; VGPRBlocks: 13
; NumSGPRsForWavesPerEU: 26
; NumVGPRsForWavesPerEU: 54
; Occupancy: 4
; WaveLimiterHint : 1
; COMPUTE_PGM_RSRC2:SCRATCH_EN: 0
; COMPUTE_PGM_RSRC2:USER_SGPR: 6
; COMPUTE_PGM_RSRC2:TRAP_HANDLER: 0
; COMPUTE_PGM_RSRC2:TGID_X_EN: 1
; COMPUTE_PGM_RSRC2:TGID_Y_EN: 0
; COMPUTE_PGM_RSRC2:TGID_Z_EN: 0
; COMPUTE_PGM_RSRC2:TIDIG_COMP_CNT: 0
	.type	__hip_cuid_b750b42a53d13abb,@object ; @__hip_cuid_b750b42a53d13abb
	.section	.bss,"aw",@nobits
	.globl	__hip_cuid_b750b42a53d13abb
__hip_cuid_b750b42a53d13abb:
	.byte	0                               ; 0x0
	.size	__hip_cuid_b750b42a53d13abb, 1

	.ident	"AMD clang version 19.0.0git (https://github.com/RadeonOpenCompute/llvm-project roc-6.4.0 25133 c7fe45cf4b819c5991fe208aaa96edf142730f1d)"
	.section	".note.GNU-stack","",@progbits
	.addrsig
	.addrsig_sym __hip_cuid_b750b42a53d13abb
	.amdgpu_metadata
---
amdhsa.kernels:
  - .args:
      - .actual_access:  read_only
        .address_space:  global
        .offset:         0
        .size:           8
        .value_kind:     global_buffer
      - .offset:         8
        .size:           8
        .value_kind:     by_value
      - .actual_access:  read_only
        .address_space:  global
        .offset:         16
        .size:           8
        .value_kind:     global_buffer
      - .actual_access:  read_only
        .address_space:  global
        .offset:         24
        .size:           8
        .value_kind:     global_buffer
      - .offset:         32
        .size:           8
        .value_kind:     by_value
      - .actual_access:  read_only
        .address_space:  global
        .offset:         40
        .size:           8
        .value_kind:     global_buffer
      - .actual_access:  read_only
        .address_space:  global
        .offset:         48
        .size:           8
        .value_kind:     global_buffer
      - .offset:         56
        .size:           4
        .value_kind:     by_value
      - .actual_access:  read_only
        .address_space:  global
        .offset:         64
        .size:           8
        .value_kind:     global_buffer
      - .actual_access:  read_only
        .address_space:  global
        .offset:         72
        .size:           8
        .value_kind:     global_buffer
      - .address_space:  global
        .offset:         80
        .size:           8
        .value_kind:     global_buffer
    .group_segment_fixed_size: 0
    .kernarg_segment_align: 8
    .kernarg_segment_size: 88
    .language:       OpenCL C
    .language_version:
      - 2
      - 0
    .max_flat_workgroup_size: 48
    .name:           fft_rtc_back_len768_factors_16_3_16_wgs_48_tpt_48_halfLds_half_ip_CI_unitstride_sbrr_R2C_dirReg
    .private_segment_fixed_size: 0
    .sgpr_count:     26
    .sgpr_spill_count: 0
    .symbol:         fft_rtc_back_len768_factors_16_3_16_wgs_48_tpt_48_halfLds_half_ip_CI_unitstride_sbrr_R2C_dirReg.kd
    .uniform_work_group_size: 1
    .uses_dynamic_stack: false
    .vgpr_count:     54
    .vgpr_spill_count: 0
    .wavefront_size: 64
amdhsa.target:   amdgcn-amd-amdhsa--gfx906
amdhsa.version:
  - 1
  - 2
...

	.end_amdgpu_metadata
